;; amdgpu-corpus repo=ROCm/rocFFT kind=compiled arch=gfx1030 opt=O3
	.text
	.amdgcn_target "amdgcn-amd-amdhsa--gfx1030"
	.amdhsa_code_object_version 6
	.protected	fft_rtc_back_len256_factors_4_4_4_4_wgs_256_tpt_32_half_op_CI_CI_sbrc_erc_z_xy_unaligned_dirReg ; -- Begin function fft_rtc_back_len256_factors_4_4_4_4_wgs_256_tpt_32_half_op_CI_CI_sbrc_erc_z_xy_unaligned_dirReg
	.globl	fft_rtc_back_len256_factors_4_4_4_4_wgs_256_tpt_32_half_op_CI_CI_sbrc_erc_z_xy_unaligned_dirReg
	.p2align	8
	.type	fft_rtc_back_len256_factors_4_4_4_4_wgs_256_tpt_32_half_op_CI_CI_sbrc_erc_z_xy_unaligned_dirReg,@function
fft_rtc_back_len256_factors_4_4_4_4_wgs_256_tpt_32_half_op_CI_CI_sbrc_erc_z_xy_unaligned_dirReg: ; @fft_rtc_back_len256_factors_4_4_4_4_wgs_256_tpt_32_half_op_CI_CI_sbrc_erc_z_xy_unaligned_dirReg
; %bb.0:
	s_load_dwordx8 s[8:15], s[4:5], 0x0
	s_waitcnt lgkmcnt(0)
	s_load_dwordx4 s[0:3], s[12:13], 0x8
	s_waitcnt lgkmcnt(0)
	s_add_i32 s1, s0, -1
	s_lshr_b32 s1, s1, 3
	s_add_i32 s3, s1, 1
	s_mul_i32 s2, s3, s2
	v_cvt_f32_u32_e32 v2, s3
	v_cvt_f32_u32_e32 v1, s2
	s_sub_i32 s12, 0, s2
	v_rcp_iflag_f32_e32 v2, v2
	v_rcp_iflag_f32_e32 v1, v1
	v_mul_f32_e32 v1, 0x4f7ffffe, v1
	v_cvt_u32_f32_e32 v1, v1
	v_readfirstlane_b32 s7, v1
	v_mul_f32_e32 v1, 0x4f7ffffe, v2
	s_mul_i32 s12, s12, s7
	v_cvt_u32_f32_e32 v1, v1
	s_mul_hi_u32 s12, s7, s12
	s_add_i32 s7, s7, s12
	v_readfirstlane_b32 s17, v1
	s_mul_hi_u32 s7, s6, s7
	s_mul_i32 s12, s7, s2
	s_add_i32 s13, s7, 1
	s_sub_i32 s12, s6, s12
	s_sub_i32 s16, s12, s2
	s_cmp_ge_u32 s12, s2
	s_cselect_b32 s7, s13, s7
	s_cselect_b32 s12, s16, s12
	s_add_i32 s13, s7, 1
	s_cmp_ge_u32 s12, s2
	s_cselect_b32 s22, s13, s7
	s_not_b32 s1, s1
	s_mul_i32 s2, s22, s2
	s_mul_i32 s1, s1, s17
	s_sub_i32 s2, s6, s2
	s_mul_hi_u32 s1, s17, s1
	s_load_dword s13, s[14:15], 0x10
	s_add_i32 s1, s17, s1
	s_load_dwordx4 s[16:19], s[14:15], 0x0
	s_mul_hi_u32 s7, s2, s1
	s_mul_hi_u32 s1, s6, s1
	s_mul_i32 s12, s7, s3
	s_mul_i32 s1, s1, s3
	s_sub_i32 s2, s2, s12
	s_add_i32 s12, s7, 1
	s_waitcnt lgkmcnt(0)
	s_sub_i32 s19, s2, s3
	s_cmp_ge_u32 s2, s3
	s_cselect_b32 s7, s12, s7
	s_cselect_b32 s2, s19, s2
	s_add_i32 s12, s7, 1
	s_cmp_ge_u32 s2, s3
	s_mov_b32 s19, 0
	s_cselect_b32 s23, s12, s7
	s_sub_i32 s1, s6, s1
	s_sub_i32 s2, s1, s3
	s_cmp_ge_u32 s1, s3
	s_mul_i32 s6, s23, s13
	s_cselect_b32 s1, s2, s1
	s_sub_i32 s2, s1, s3
	s_cmp_ge_u32 s1, s3
	s_cselect_b32 s1, s2, s1
	s_lshl_b64 s[2:3], s[10:11], 3
	s_lshl_b32 s1, s1, 3
	s_mul_i32 s7, s1, s18
	s_add_i32 s12, s7, s6
	s_add_u32 s6, s14, s2
	s_addc_u32 s7, s15, s3
	s_load_dwordx2 s[6:7], s[6:7], 0x0
	s_clause 0x1
	s_load_dwordx2 s[24:25], s[4:5], 0x20
	s_load_dwordx2 s[10:11], s[4:5], 0x58
	s_waitcnt lgkmcnt(0)
	s_mul_i32 s7, s7, s22
	s_mul_hi_u32 s13, s6, s22
	s_mul_i32 s6, s6, s22
	s_add_i32 s13, s13, s7
	s_add_u32 s20, s6, s12
	s_addc_u32 s21, s13, 0
	s_add_u32 s6, s24, s2
	s_addc_u32 s7, s25, s3
	s_clause 0x2
	s_load_dwordx4 s[12:15], s[24:25], 0x0
	s_load_dwordx2 s[2:3], s[24:25], 0x10
	s_load_dwordx2 s[6:7], s[6:7], 0x0
	s_waitcnt lgkmcnt(0)
	s_add_i32 s3, s1, 8
	s_mov_b32 s15, -1
	s_cmp_le_u32 s3, s0
	s_cselect_b32 s3, -1, 0
	s_and_b32 vcc_lo, exec_lo, s3
	s_cbranch_vccz .LBB0_2
; %bb.1:
	v_mad_u64_u32 v[1:2], null, s16, v0, 0
	s_lshl_b64 s[24:25], s[20:21], 2
	s_mov_b32 s27, s19
	s_add_u32 s15, s10, s24
	s_addc_u32 s33, s11, s25
	s_lshl_b64 s[24:25], s[18:19], 2
	s_add_i32 s26, s18, s18
	v_mad_u64_u32 v[2:3], null, s17, v0, v[2:3]
	s_add_i32 s28, s26, s18
	s_lshl_b64 s[26:27], s[26:27], 2
	s_mov_b32 s29, s19
	s_add_i32 s30, s28, s18
	s_lshl_b64 s[28:29], s[28:29], 2
	s_mov_b32 s31, s19
	v_lshlrev_b64 v[1:2], 2, v[1:2]
	s_lshl_b64 s[36:37], s[30:31], 2
	s_mov_b32 s35, s19
	s_add_i32 s34, s30, s18
	v_add_co_u32 v1, vcc_lo, s15, v1
	v_add_co_ci_u32_e32 v2, vcc_lo, s33, v2, vcc_lo
	s_mov_b32 s15, 0
	v_add_co_u32 v3, vcc_lo, v1, s24
	v_add_co_ci_u32_e32 v4, vcc_lo, s25, v2, vcc_lo
	v_add_co_u32 v5, vcc_lo, v1, s26
	v_add_co_ci_u32_e32 v6, vcc_lo, s27, v2, vcc_lo
	;; [unrolled: 2-line block ×3, first 2 shown]
	v_add_co_u32 v9, vcc_lo, v1, s36
	s_lshl_b64 s[24:25], s[34:35], 2
	v_add_co_ci_u32_e32 v10, vcc_lo, s37, v2, vcc_lo
	s_add_i32 s26, s34, s18
	s_mov_b32 s27, s19
	v_add_co_u32 v11, vcc_lo, v1, s24
	v_add_co_ci_u32_e32 v12, vcc_lo, s25, v2, vcc_lo
	s_lshl_b64 s[24:25], s[26:27], 2
	s_add_i32 s26, s26, s18
	v_add_co_u32 v13, vcc_lo, v1, s24
	v_add_co_ci_u32_e32 v14, vcc_lo, s25, v2, vcc_lo
	s_lshl_b64 s[24:25], s[26:27], 2
	v_add_co_u32 v15, vcc_lo, v1, s24
	v_add_co_ci_u32_e32 v16, vcc_lo, s25, v2, vcc_lo
	s_clause 0x7
	global_load_dword v1, v[1:2], off
	global_load_dword v2, v[3:4], off
	;; [unrolled: 1-line block ×8, first 2 shown]
	v_lshl_add_u32 v9, v0, 2, 0
	s_waitcnt vmcnt(7)
	ds_write_b32 v9, v1
	s_waitcnt vmcnt(6)
	ds_write_b32 v9, v2 offset:1028
	s_waitcnt vmcnt(5)
	ds_write_b32 v9, v3 offset:2056
	s_waitcnt vmcnt(4)
	ds_write_b32 v9, v4 offset:3084
	s_waitcnt vmcnt(3)
	ds_write_b32 v9, v5 offset:4112
	s_waitcnt vmcnt(2)
	ds_write_b32 v9, v6 offset:5140
	s_waitcnt vmcnt(1)
	ds_write_b32 v9, v7 offset:6168
	s_waitcnt vmcnt(0)
	ds_write_b32 v9, v8 offset:7196
.LBB0_2:
	s_load_dwordx2 s[4:5], s[4:5], 0x60
	s_andn2_b32 vcc_lo, exec_lo, s15
	s_cbranch_vccnz .LBB0_7
; %bb.3:
	s_cmp_lt_u32 s1, s0
	s_cselect_b32 s19, -1, 0
	s_and_saveexec_b32 s15, s19
	s_cbranch_execz .LBB0_6
; %bb.4:
	v_mad_u64_u32 v[1:2], null, s16, v0, 0
	v_lshl_add_u32 v4, v0, 2, 0
	v_mad_u64_u32 v[2:3], null, s17, v0, v[2:3]
	s_lshl_b64 s[16:17], s[20:21], 2
	v_mov_b32_e32 v3, s1
	s_add_u32 s10, s10, s16
	s_addc_u32 s11, s11, s17
	v_lshlrev_b64 v[5:6], 2, v[1:2]
	v_mov_b32_e32 v2, 0
	v_mov_b32_e32 v1, v2
	v_add_co_u32 v5, vcc_lo, s10, v5
	v_add_co_ci_u32_e32 v6, vcc_lo, s11, v6, vcc_lo
	s_mov_b32 s10, 0
	.p2align	6
.LBB0_5:                                ; =>This Inner Loop Header: Depth=1
	v_lshlrev_b64 v[7:8], 2, v[1:2]
	v_add_nc_u32_e32 v3, 1, v3
	v_add_nc_u32_e32 v1, s18, v1
	v_add_co_u32 v7, vcc_lo, v5, v7
	v_add_co_ci_u32_e32 v8, vcc_lo, v6, v8, vcc_lo
	v_cmp_le_u32_e32 vcc_lo, s0, v3
	global_load_dword v7, v[7:8], off
	s_or_b32 s10, vcc_lo, s10
	s_waitcnt vmcnt(0)
	ds_write_b32 v4, v7
	v_add_nc_u32_e32 v4, 0x404, v4
	s_andn2_b32 exec_lo, exec_lo, s10
	s_cbranch_execnz .LBB0_5
.LBB0_6:
	s_or_b32 exec_lo, exec_lo, s15
.LBB0_7:
	v_lshrrev_b32_e32 v1, 5, v0
	v_and_b32_e32 v12, 31, v0
	s_waitcnt lgkmcnt(0)
	s_barrier
	buffer_gl0_inv
	v_mul_u32_u24_e32 v1, 0x101, v1
	v_lshlrev_b32_e32 v13, 2, v12
	v_and_b32_e32 v15, 3, v0
	v_or_b32_e32 v16, 32, v12
	s_mul_hi_u32 s10, s12, s1
	v_lshlrev_b32_e32 v1, 2, v1
	s_mul_i32 s23, s23, s14
	v_mul_u32_u24_e32 v11, 3, v15
	s_mul_i32 s11, s12, s1
	s_mul_i32 s7, s7, s22
	v_add_nc_u32_e32 v14, 0, v1
	v_add3_u32 v1, 0, v13, v1
	v_lshlrev_b32_e32 v11, 2, v11
	s_mul_hi_u32 s14, s6, s22
	s_mul_i32 s6, s6, s22
	v_add_nc_u32_e32 v2, v14, v13
	v_mad_u32_u24 v17, v12, 12, v1
	ds_read2_b32 v[3:4], v1 offset0:32 offset1:64
	ds_read2_b32 v[5:6], v1 offset0:160 offset1:192
	;; [unrolled: 1-line block ×3, first 2 shown]
	ds_read_b32 v9, v2
	ds_read_b32 v10, v1 offset:896
	v_lshl_add_u32 v18, v16, 4, v14
	s_waitcnt lgkmcnt(0)
	s_barrier
	buffer_gl0_inv
	v_lshlrev_b32_e32 v16, 2, v16
	v_mul_u32_u24_e32 v12, 3, v12
	v_lshlrev_b32_e32 v12, 2, v12
	v_pk_add_f16 v6, v4, v6 neg_lo:[0,1] neg_hi:[0,1]
	v_pk_add_f16 v5, v3, v5 neg_lo:[0,1] neg_hi:[0,1]
	;; [unrolled: 1-line block ×4, first 2 shown]
	v_alignbit_b32 v19, s0, v6, 16
	v_alignbit_b32 v21, s0, v5, 16
	;; [unrolled: 1-line block ×4, first 2 shown]
	v_pk_fma_f16 v4, v4, 2.0, v6 op_sel_hi:[1,0,1] neg_lo:[0,0,1] neg_hi:[0,0,1]
	v_pk_fma_f16 v9, v9, 2.0, v8 op_sel_hi:[1,0,1] neg_lo:[0,0,1] neg_hi:[0,0,1]
	v_pk_add_f16 v19, v8, v19
	v_lshrrev_b32_e32 v22, 16, v8
	v_pk_add_f16 v6, v23, v6 neg_lo:[0,1] neg_hi:[0,1]
	v_pk_fma_f16 v3, v3, 2.0, v5 op_sel_hi:[1,0,1] neg_lo:[0,0,1] neg_hi:[0,0,1]
	v_lshrrev_b32_e32 v20, 16, v5
	v_pk_fma_f16 v7, v7, 2.0, v10 op_sel_hi:[1,0,1] neg_lo:[0,0,1] neg_hi:[0,0,1]
	v_pk_add_f16 v10, v21, v10 neg_lo:[0,1] neg_hi:[0,1]
	v_pk_add_f16 v21, v5, v24
	v_pk_add_f16 v4, v9, v4 neg_lo:[0,1] neg_hi:[0,1]
	v_fma_f16 v8, v8, 2.0, -v19
	v_fma_f16 v22, v22, 2.0, -v6
	v_pk_add_f16 v7, v3, v7 neg_lo:[0,1] neg_hi:[0,1]
	v_fma_f16 v20, v20, 2.0, -v10
	v_fma_f16 v5, v5, 2.0, -v21
	v_pack_b32_f16 v6, v19, v6
	v_pk_fma_f16 v9, v9, 2.0, v4 op_sel_hi:[1,0,1] neg_lo:[0,0,1] neg_hi:[0,0,1]
	v_pack_b32_f16 v8, v8, v22
	v_pk_fma_f16 v3, v3, 2.0, v7 op_sel_hi:[1,0,1] neg_lo:[0,0,1] neg_hi:[0,0,1]
	v_pack_b32_f16 v5, v5, v20
	v_pack_b32_f16 v10, v21, v10
	ds_write2_b32 v17, v4, v6 offset0:2 offset1:3
	ds_write2_b32 v17, v9, v8 offset1:1
	ds_write2_b32 v18, v3, v5 offset1:1
	ds_write2_b32 v18, v7, v10 offset0:2 offset1:3
	s_waitcnt lgkmcnt(0)
	s_barrier
	buffer_gl0_inv
	global_load_dwordx3 v[3:5], v11, s[8:9]
	ds_read2_b32 v[6:7], v1 offset0:32 offset1:64
	ds_read2_b32 v[8:9], v1 offset0:96 offset1:128
	;; [unrolled: 1-line block ×3, first 2 shown]
	ds_read_b32 v18, v1 offset:896
	ds_read_b32 v19, v2
	v_and_b32_e32 v17, 15, v0
	v_and_or_b32 v21, 0x70, v13, v15
	v_and_or_b32 v15, 0xf0, v16, v15
	s_waitcnt vmcnt(0) lgkmcnt(0)
	s_barrier
	v_mul_u32_u24_e32 v20, 3, v17
	v_lshl_add_u32 v21, v21, 2, v14
	v_lshl_add_u32 v15, v15, 2, v14
	buffer_gl0_inv
	v_and_or_b32 v13, v13, 64, v17
	v_lshlrev_b32_e32 v20, 2, v20
	v_and_or_b32 v16, 0xc0, v16, v17
	v_lshl_add_u32 v13, v13, 2, v14
	v_lshrrev_b32_e32 v22, 16, v7
	v_lshrrev_b32_e32 v23, 16, v9
	;; [unrolled: 1-line block ×8, first 2 shown]
	v_lshl_add_u32 v14, v16, 2, v14
	v_mul_f16_sdwa v30, v3, v22 dst_sel:DWORD dst_unused:UNUSED_PAD src0_sel:WORD_1 src1_sel:DWORD
	v_mul_f16_sdwa v31, v3, v7 dst_sel:DWORD dst_unused:UNUSED_PAD src0_sel:WORD_1 src1_sel:DWORD
	;; [unrolled: 1-line block ×12, first 2 shown]
	v_fmac_f16_e32 v30, v3, v7
	v_fma_f16 v7, v3, v22, -v31
	v_fmac_f16_e32 v32, v4, v9
	v_fma_f16 v9, v4, v23, -v33
	;; [unrolled: 2-line block ×6, first 2 shown]
	v_sub_f16_e32 v8, v19, v32
	v_sub_f16_e32 v9, v28, v9
	;; [unrolled: 1-line block ×8, first 2 shown]
	v_fma_f16 v19, v19, 2.0, -v8
	v_fma_f16 v23, v28, 2.0, -v9
	;; [unrolled: 1-line block ×8, first 2 shown]
	v_add_f16_e32 v11, v8, v11
	v_sub_f16_e32 v10, v9, v10
	v_sub_f16_e32 v24, v19, v24
	;; [unrolled: 1-line block ×3, first 2 shown]
	v_add_f16_e32 v5, v18, v5
	v_sub_f16_e32 v22, v4, v22
	v_sub_f16_e32 v26, v6, v26
	;; [unrolled: 1-line block ×3, first 2 shown]
	v_fma_f16 v8, v8, 2.0, -v11
	v_fma_f16 v9, v9, 2.0, -v10
	v_pack_b32_f16 v10, v11, v10
	v_fma_f16 v11, v19, 2.0, -v24
	v_fma_f16 v19, v23, 2.0, -v7
	v_fma_f16 v18, v18, 2.0, -v5
	v_fma_f16 v4, v4, 2.0, -v22
	v_pack_b32_f16 v5, v5, v22
	v_fma_f16 v6, v6, 2.0, -v26
	v_fma_f16 v22, v25, 2.0, -v3
	v_pack_b32_f16 v7, v24, v7
	v_pack_b32_f16 v3, v26, v3
	;; [unrolled: 1-line block ×6, first 2 shown]
	ds_write2_b32 v21, v7, v10 offset0:8 offset1:12
	ds_write2_b32 v15, v3, v5 offset0:8 offset1:12
	ds_write2_b32 v21, v9, v8 offset1:4
	ds_write2_b32 v15, v6, v4 offset1:4
	s_waitcnt lgkmcnt(0)
	s_barrier
	buffer_gl0_inv
	global_load_dwordx3 v[3:5], v20, s[8:9] offset:48
	ds_read2_b32 v[6:7], v1 offset0:32 offset1:64
	ds_read2_b32 v[8:9], v1 offset0:96 offset1:128
	;; [unrolled: 1-line block ×3, first 2 shown]
	ds_read_b32 v15, v1 offset:896
	ds_read_b32 v18, v2
	s_waitcnt vmcnt(0) lgkmcnt(0)
	s_barrier
	buffer_gl0_inv
	v_lshrrev_b32_e32 v16, 16, v7
	v_lshrrev_b32_e32 v17, 16, v9
	v_lshrrev_b32_e32 v19, 16, v11
	v_lshrrev_b32_e32 v20, 16, v8
	v_lshrrev_b32_e32 v21, 16, v10
	v_lshrrev_b32_e32 v22, 16, v15
	v_lshrrev_b32_e32 v23, 16, v18
	v_lshrrev_b32_e32 v24, 16, v6
	v_mul_f16_sdwa v25, v3, v16 dst_sel:DWORD dst_unused:UNUSED_PAD src0_sel:WORD_1 src1_sel:DWORD
	v_mul_f16_sdwa v26, v3, v7 dst_sel:DWORD dst_unused:UNUSED_PAD src0_sel:WORD_1 src1_sel:DWORD
	;; [unrolled: 1-line block ×12, first 2 shown]
	v_fmac_f16_e32 v25, v3, v7
	v_fma_f16 v7, v3, v16, -v26
	v_fmac_f16_e32 v27, v4, v9
	v_fma_f16 v9, v4, v17, -v28
	;; [unrolled: 2-line block ×6, first 2 shown]
	v_sub_f16_e32 v8, v18, v27
	v_sub_f16_e32 v9, v23, v9
	;; [unrolled: 1-line block ×8, first 2 shown]
	v_fma_f16 v17, v18, 2.0, -v8
	v_fma_f16 v18, v23, 2.0, -v9
	;; [unrolled: 1-line block ×8, first 2 shown]
	v_add_f16_e32 v11, v8, v11
	v_sub_f16_e32 v10, v9, v10
	v_add_f16_e32 v5, v15, v5
	v_sub_f16_e32 v16, v4, v16
	v_sub_f16_e32 v19, v17, v19
	;; [unrolled: 1-line block ×5, first 2 shown]
	v_fma_f16 v8, v8, 2.0, -v11
	v_fma_f16 v9, v9, 2.0, -v10
	;; [unrolled: 1-line block ×4, first 2 shown]
	v_pack_b32_f16 v10, v11, v10
	v_pack_b32_f16 v5, v5, v16
	v_fma_f16 v11, v17, 2.0, -v19
	v_fma_f16 v16, v18, 2.0, -v7
	;; [unrolled: 1-line block ×4, first 2 shown]
	v_pack_b32_f16 v7, v19, v7
	v_pack_b32_f16 v3, v21, v3
	;; [unrolled: 1-line block ×6, first 2 shown]
	ds_write2_b32 v13, v7, v10 offset0:32 offset1:48
	ds_write2_b32 v14, v3, v5 offset0:32 offset1:48
	ds_write2_b32 v13, v9, v8 offset1:16
	ds_write2_b32 v14, v6, v4 offset1:16
	s_waitcnt lgkmcnt(0)
	s_barrier
	buffer_gl0_inv
	s_clause 0x1
	global_load_dwordx3 v[5:7], v12, s[8:9] offset:240
	global_load_dwordx3 v[8:10], v12, s[8:9] offset:624
	ds_read2_b32 v[11:12], v1 offset0:32 offset1:64
	ds_read2_b32 v[13:14], v1 offset0:96 offset1:128
	;; [unrolled: 1-line block ×3, first 2 shown]
	ds_read_b32 v2, v2
	ds_read_u16 v17, v1 offset:898
	ds_read_b32 v18, v1 offset:896
	s_mul_i32 s9, s13, s1
	v_lshrrev_b32_e32 v3, 3, v0
	s_add_i32 s10, s10, s9
	v_and_b32_e32 v4, 7, v0
	s_add_u32 s9, s11, s23
	s_addc_u32 s10, s10, 0
	s_add_i32 s14, s14, s7
	s_add_u32 s6, s9, s6
	s_mov_b32 s8, -1
	s_addc_u32 s7, s10, s14
	s_andn2_b32 vcc_lo, exec_lo, s3
	s_waitcnt vmcnt(0) lgkmcnt(0)
	s_barrier
	buffer_gl0_inv
	v_lshrrev_b32_e32 v19, 16, v12
	v_lshrrev_b32_e32 v20, 16, v14
	;; [unrolled: 1-line block ×7, first 2 shown]
	v_mul_f16_sdwa v26, v5, v19 dst_sel:DWORD dst_unused:UNUSED_PAD src0_sel:WORD_1 src1_sel:DWORD
	v_mul_f16_sdwa v27, v5, v12 dst_sel:DWORD dst_unused:UNUSED_PAD src0_sel:WORD_1 src1_sel:DWORD
	;; [unrolled: 1-line block ×10, first 2 shown]
	v_mul_f16_sdwa v36, v17, v10 dst_sel:DWORD dst_unused:UNUSED_PAD src0_sel:DWORD src1_sel:WORD_1
	v_mul_f16_sdwa v37, v10, v18 dst_sel:DWORD dst_unused:UNUSED_PAD src0_sel:WORD_1 src1_sel:DWORD
	v_fmac_f16_e32 v26, v5, v12
	v_fma_f16 v5, v5, v19, -v27
	v_fmac_f16_e32 v28, v6, v14
	v_fma_f16 v6, v6, v20, -v29
	;; [unrolled: 2-line block ×6, first 2 shown]
	v_sub_f16_e32 v12, v2, v28
	v_sub_f16_e32 v6, v24, v6
	;; [unrolled: 1-line block ×8, first 2 shown]
	v_fma_f16 v2, v2, 2.0, -v12
	v_fma_f16 v16, v24, 2.0, -v6
	;; [unrolled: 1-line block ×8, first 2 shown]
	v_add_f16_e32 v7, v12, v7
	v_sub_f16_e32 v13, v6, v13
	v_add_f16_e32 v10, v14, v10
	v_sub_f16_e32 v15, v9, v15
	v_sub_f16_e32 v17, v2, v17
	;; [unrolled: 1-line block ×5, first 2 shown]
	v_fma_f16 v12, v12, 2.0, -v7
	v_fma_f16 v6, v6, 2.0, -v13
	;; [unrolled: 1-line block ×4, first 2 shown]
	v_pack_b32_f16 v7, v7, v13
	v_pack_b32_f16 v10, v10, v15
	v_fma_f16 v2, v2, 2.0, -v17
	v_fma_f16 v13, v16, 2.0, -v5
	;; [unrolled: 1-line block ×4, first 2 shown]
	v_pack_b32_f16 v6, v12, v6
	v_pack_b32_f16 v9, v14, v9
	;; [unrolled: 1-line block ×6, first 2 shown]
	ds_write2_b32 v1, v7, v10 offset0:192 offset1:224
	ds_write2_b32 v1, v6, v9 offset0:64 offset1:96
	;; [unrolled: 1-line block ×3, first 2 shown]
	ds_write2_b32 v1, v2, v11 offset1:32
	s_waitcnt lgkmcnt(0)
	s_barrier
	buffer_gl0_inv
	s_cbranch_vccnz .LBB0_11
; %bb.8:
	v_mad_u64_u32 v[5:6], null, s12, v4, 0
	v_mul_lo_u32 v7, v3, s2
	s_lshl_b64 s[8:9], s[6:7], 2
	v_mov_b32_e32 v8, 0
	s_add_u32 s3, s4, s8
	s_addc_u32 s9, s5, s9
	s_lshl_b32 s10, s2, 5
	v_mov_b32_e32 v1, v6
	s_mov_b32 s8, 0
	v_lshlrev_b64 v[9:10], 2, v[7:8]
	v_add_nc_u32_e32 v7, s10, v7
	v_mad_u64_u32 v[11:12], null, s13, v4, v[1:2]
	v_mad_u32_u24 v1, 0x404, v4, 0
	v_lshlrev_b64 v[12:13], 2, v[7:8]
	v_add_nc_u32_e32 v7, s10, v7
	v_lshl_add_u32 v22, v3, 2, v1
	v_mov_b32_e32 v6, v11
	v_lshlrev_b64 v[14:15], 2, v[7:8]
	ds_read2_b32 v[16:17], v22 offset1:32
	ds_read2_b32 v[18:19], v22 offset0:64 offset1:96
	v_lshlrev_b64 v[5:6], 2, v[5:6]
	v_add_nc_u32_e32 v7, s10, v7
	v_lshlrev_b64 v[20:21], 2, v[7:8]
	v_add_co_u32 v2, vcc_lo, s3, v5
	v_add_co_ci_u32_e32 v5, vcc_lo, s9, v6, vcc_lo
	v_add_nc_u32_e32 v7, s10, v7
	v_add_co_u32 v9, vcc_lo, v2, v9
	v_add_co_ci_u32_e32 v10, vcc_lo, v5, v10, vcc_lo
	v_add_co_u32 v11, vcc_lo, v2, v12
	v_add_co_ci_u32_e32 v12, vcc_lo, v5, v13, vcc_lo
	;; [unrolled: 2-line block ×3, first 2 shown]
	s_waitcnt lgkmcnt(1)
	global_store_dword v[9:10], v16, off
	v_add_co_u32 v9, vcc_lo, v2, v20
	v_lshlrev_b64 v[15:16], 2, v[7:8]
	v_add_nc_u32_e32 v7, s10, v7
	v_add_co_ci_u32_e32 v10, vcc_lo, v5, v21, vcc_lo
	global_store_dword v[11:12], v17, off
	s_waitcnt lgkmcnt(0)
	global_store_dword v[13:14], v18, off
	global_store_dword v[9:10], v19, off
	ds_read2_b32 v[9:10], v22 offset0:128 offset1:160
	v_lshlrev_b64 v[11:12], 2, v[7:8]
	v_add_nc_u32_e32 v7, s10, v7
	ds_read2_b32 v[13:14], v22 offset0:192 offset1:224
	v_add_co_u32 v15, vcc_lo, v2, v15
	v_add_co_ci_u32_e32 v16, vcc_lo, v5, v16, vcc_lo
	v_lshlrev_b64 v[17:18], 2, v[7:8]
	v_add_nc_u32_e32 v7, s10, v7
	v_add_co_u32 v11, vcc_lo, v2, v11
	v_add_co_ci_u32_e32 v12, vcc_lo, v5, v12, vcc_lo
	v_lshlrev_b64 v[6:7], 2, v[7:8]
	v_add_co_u32 v17, vcc_lo, v2, v17
	v_add_co_ci_u32_e32 v18, vcc_lo, v5, v18, vcc_lo
	s_mov_b32 s3, exec_lo
	v_add_co_u32 v6, vcc_lo, v2, v6
	v_add_co_ci_u32_e32 v7, vcc_lo, v5, v7, vcc_lo
	s_waitcnt lgkmcnt(1)
	global_store_dword v[15:16], v9, off
	global_store_dword v[11:12], v10, off
	s_waitcnt lgkmcnt(0)
	global_store_dword v[17:18], v13, off
	global_store_dword v[6:7], v14, off
	v_cmpx_gt_u32_e32 8, v0
	s_cbranch_execz .LBB0_10
; %bb.9:
	ds_read_b32 v6, v1 offset:1024
	s_lshl_b32 s10, s2, 8
	s_mov_b32 s11, 0
	s_lshl_b64 s[10:11], s[10:11], 2
	v_add_co_u32 v1, vcc_lo, v2, s10
	v_add_co_ci_u32_e32 v2, vcc_lo, s11, v5, vcc_lo
	s_waitcnt lgkmcnt(0)
	global_store_dword v[1:2], v6, off
.LBB0_10:
	s_or_b32 exec_lo, exec_lo, s3
.LBB0_11:
	s_andn2_b32 vcc_lo, exec_lo, s8
	s_cbranch_vccnz .LBB0_15
; %bb.12:
	v_or_b32_e32 v1, s1, v4
	s_mov_b32 s1, exec_lo
	v_cmpx_gt_u32_e64 s0, v1
	s_cbranch_execz .LBB0_15
; %bb.13:
	v_mul_lo_u32 v1, v3, s2
	v_mov_b32_e32 v2, 0
	v_mad_u64_u32 v[5:6], null, s12, v4, 0
	s_lshl_b64 s[6:7], s[6:7], 2
	s_add_u32 s3, s4, s6
	s_addc_u32 s4, s5, s7
	v_lshlrev_b64 v[7:8], 2, v[1:2]
	s_lshl_b32 s1, s2, 5
	s_and_b32 s0, s0, 7
	v_add_nc_u32_e32 v1, s1, v1
	v_mad_u64_u32 v[9:10], null, s13, v4, v[6:7]
	v_mad_u32_u24 v4, 0x404, v4, 0
	v_lshlrev_b64 v[10:11], 2, v[1:2]
	v_add_nc_u32_e32 v1, s1, v1
	v_lshl_add_u32 v20, v3, 2, v4
	v_mov_b32_e32 v6, v9
	v_lshlrev_b64 v[12:13], 2, v[1:2]
	ds_read2_b32 v[14:15], v20 offset1:32
	ds_read2_b32 v[16:17], v20 offset0:64 offset1:96
	v_lshlrev_b64 v[5:6], 2, v[5:6]
	v_add_nc_u32_e32 v1, s1, v1
	v_lshlrev_b64 v[18:19], 2, v[1:2]
	v_add_co_u32 v3, vcc_lo, s3, v5
	v_add_co_ci_u32_e32 v5, vcc_lo, s4, v6, vcc_lo
	v_add_nc_u32_e32 v1, s1, v1
	v_add_co_u32 v6, vcc_lo, v3, v7
	v_add_co_ci_u32_e32 v7, vcc_lo, v5, v8, vcc_lo
	v_add_co_u32 v8, vcc_lo, v3, v10
	v_add_co_ci_u32_e32 v9, vcc_lo, v5, v11, vcc_lo
	;; [unrolled: 2-line block ×3, first 2 shown]
	s_waitcnt lgkmcnt(1)
	global_store_dword v[6:7], v14, off
	v_add_co_u32 v6, vcc_lo, v3, v18
	v_lshlrev_b64 v[12:13], 2, v[1:2]
	v_add_nc_u32_e32 v1, s1, v1
	v_add_co_ci_u32_e32 v7, vcc_lo, v5, v19, vcc_lo
	global_store_dword v[8:9], v15, off
	s_waitcnt lgkmcnt(0)
	global_store_dword v[10:11], v16, off
	global_store_dword v[6:7], v17, off
	v_lshlrev_b64 v[8:9], 2, v[1:2]
	v_add_nc_u32_e32 v1, s1, v1
	ds_read2_b32 v[6:7], v20 offset0:128 offset1:160
	v_add_co_u32 v10, vcc_lo, v3, v12
	v_add_co_ci_u32_e32 v11, vcc_lo, v5, v13, vcc_lo
	v_lshlrev_b64 v[14:15], 2, v[1:2]
	v_add_nc_u32_e32 v1, s1, v1
	ds_read2_b32 v[12:13], v20 offset0:192 offset1:224
	v_add_co_u32 v8, vcc_lo, v3, v8
	v_add_co_ci_u32_e32 v9, vcc_lo, v5, v9, vcc_lo
	v_lshlrev_b64 v[16:17], 2, v[1:2]
	v_add_co_u32 v14, vcc_lo, v3, v14
	v_add_co_ci_u32_e32 v15, vcc_lo, v5, v15, vcc_lo
	v_add_co_u32 v16, vcc_lo, v3, v16
	v_add_co_ci_u32_e32 v17, vcc_lo, v5, v17, vcc_lo
	v_cmp_gt_u32_e32 vcc_lo, s0, v0
	s_waitcnt lgkmcnt(1)
	global_store_dword v[10:11], v6, off
	global_store_dword v[8:9], v7, off
	s_waitcnt lgkmcnt(0)
	global_store_dword v[14:15], v12, off
	global_store_dword v[16:17], v13, off
	s_and_b32 exec_lo, exec_lo, vcc_lo
	s_cbranch_execz .LBB0_15
; %bb.14:
	ds_read_b32 v4, v4 offset:1024
	v_add_nc_u32_e32 v1, s1, v1
	v_lshlrev_b64 v[0:1], 2, v[1:2]
	v_add_co_u32 v0, vcc_lo, v3, v0
	v_add_co_ci_u32_e32 v1, vcc_lo, v5, v1, vcc_lo
	s_waitcnt lgkmcnt(0)
	global_store_dword v[0:1], v4, off
.LBB0_15:
	s_endpgm
	.section	.rodata,"a",@progbits
	.p2align	6, 0x0
	.amdhsa_kernel fft_rtc_back_len256_factors_4_4_4_4_wgs_256_tpt_32_half_op_CI_CI_sbrc_erc_z_xy_unaligned_dirReg
		.amdhsa_group_segment_fixed_size 0
		.amdhsa_private_segment_fixed_size 0
		.amdhsa_kernarg_size 104
		.amdhsa_user_sgpr_count 6
		.amdhsa_user_sgpr_private_segment_buffer 1
		.amdhsa_user_sgpr_dispatch_ptr 0
		.amdhsa_user_sgpr_queue_ptr 0
		.amdhsa_user_sgpr_kernarg_segment_ptr 1
		.amdhsa_user_sgpr_dispatch_id 0
		.amdhsa_user_sgpr_flat_scratch_init 0
		.amdhsa_user_sgpr_private_segment_size 0
		.amdhsa_wavefront_size32 1
		.amdhsa_uses_dynamic_stack 0
		.amdhsa_system_sgpr_private_segment_wavefront_offset 0
		.amdhsa_system_sgpr_workgroup_id_x 1
		.amdhsa_system_sgpr_workgroup_id_y 0
		.amdhsa_system_sgpr_workgroup_id_z 0
		.amdhsa_system_sgpr_workgroup_info 0
		.amdhsa_system_vgpr_workitem_id 0
		.amdhsa_next_free_vgpr 42
		.amdhsa_next_free_sgpr 38
		.amdhsa_reserve_vcc 1
		.amdhsa_reserve_flat_scratch 0
		.amdhsa_float_round_mode_32 0
		.amdhsa_float_round_mode_16_64 0
		.amdhsa_float_denorm_mode_32 3
		.amdhsa_float_denorm_mode_16_64 3
		.amdhsa_dx10_clamp 1
		.amdhsa_ieee_mode 1
		.amdhsa_fp16_overflow 0
		.amdhsa_workgroup_processor_mode 1
		.amdhsa_memory_ordered 1
		.amdhsa_forward_progress 0
		.amdhsa_shared_vgpr_count 0
		.amdhsa_exception_fp_ieee_invalid_op 0
		.amdhsa_exception_fp_denorm_src 0
		.amdhsa_exception_fp_ieee_div_zero 0
		.amdhsa_exception_fp_ieee_overflow 0
		.amdhsa_exception_fp_ieee_underflow 0
		.amdhsa_exception_fp_ieee_inexact 0
		.amdhsa_exception_int_div_zero 0
	.end_amdhsa_kernel
	.text
.Lfunc_end0:
	.size	fft_rtc_back_len256_factors_4_4_4_4_wgs_256_tpt_32_half_op_CI_CI_sbrc_erc_z_xy_unaligned_dirReg, .Lfunc_end0-fft_rtc_back_len256_factors_4_4_4_4_wgs_256_tpt_32_half_op_CI_CI_sbrc_erc_z_xy_unaligned_dirReg
                                        ; -- End function
	.section	.AMDGPU.csdata,"",@progbits
; Kernel info:
; codeLenInByte = 4236
; NumSgprs: 40
; NumVgprs: 42
; ScratchSize: 0
; MemoryBound: 0
; FloatMode: 240
; IeeeMode: 1
; LDSByteSize: 0 bytes/workgroup (compile time only)
; SGPRBlocks: 4
; VGPRBlocks: 5
; NumSGPRsForWavesPerEU: 40
; NumVGPRsForWavesPerEU: 42
; Occupancy: 16
; WaveLimiterHint : 1
; COMPUTE_PGM_RSRC2:SCRATCH_EN: 0
; COMPUTE_PGM_RSRC2:USER_SGPR: 6
; COMPUTE_PGM_RSRC2:TRAP_HANDLER: 0
; COMPUTE_PGM_RSRC2:TGID_X_EN: 1
; COMPUTE_PGM_RSRC2:TGID_Y_EN: 0
; COMPUTE_PGM_RSRC2:TGID_Z_EN: 0
; COMPUTE_PGM_RSRC2:TIDIG_COMP_CNT: 0
	.text
	.p2alignl 6, 3214868480
	.fill 48, 4, 3214868480
	.type	__hip_cuid_d3429c1306df828f,@object ; @__hip_cuid_d3429c1306df828f
	.section	.bss,"aw",@nobits
	.globl	__hip_cuid_d3429c1306df828f
__hip_cuid_d3429c1306df828f:
	.byte	0                               ; 0x0
	.size	__hip_cuid_d3429c1306df828f, 1

	.ident	"AMD clang version 19.0.0git (https://github.com/RadeonOpenCompute/llvm-project roc-6.4.0 25133 c7fe45cf4b819c5991fe208aaa96edf142730f1d)"
	.section	".note.GNU-stack","",@progbits
	.addrsig
	.addrsig_sym __hip_cuid_d3429c1306df828f
	.amdgpu_metadata
---
amdhsa.kernels:
  - .args:
      - .actual_access:  read_only
        .address_space:  global
        .offset:         0
        .size:           8
        .value_kind:     global_buffer
      - .offset:         8
        .size:           8
        .value_kind:     by_value
      - .actual_access:  read_only
        .address_space:  global
        .offset:         16
        .size:           8
        .value_kind:     global_buffer
      - .actual_access:  read_only
        .address_space:  global
        .offset:         24
        .size:           8
        .value_kind:     global_buffer
      - .actual_access:  read_only
        .address_space:  global
        .offset:         32
        .size:           8
        .value_kind:     global_buffer
      - .offset:         40
        .size:           8
        .value_kind:     by_value
      - .actual_access:  read_only
        .address_space:  global
        .offset:         48
        .size:           8
        .value_kind:     global_buffer
      - .actual_access:  read_only
        .address_space:  global
        .offset:         56
        .size:           8
        .value_kind:     global_buffer
      - .offset:         64
        .size:           4
        .value_kind:     by_value
      - .actual_access:  read_only
        .address_space:  global
        .offset:         72
        .size:           8
        .value_kind:     global_buffer
      - .actual_access:  read_only
        .address_space:  global
        .offset:         80
        .size:           8
        .value_kind:     global_buffer
      - .actual_access:  read_only
        .address_space:  global
        .offset:         88
        .size:           8
        .value_kind:     global_buffer
      - .actual_access:  write_only
        .address_space:  global
        .offset:         96
        .size:           8
        .value_kind:     global_buffer
    .group_segment_fixed_size: 0
    .kernarg_segment_align: 8
    .kernarg_segment_size: 104
    .language:       OpenCL C
    .language_version:
      - 2
      - 0
    .max_flat_workgroup_size: 256
    .name:           fft_rtc_back_len256_factors_4_4_4_4_wgs_256_tpt_32_half_op_CI_CI_sbrc_erc_z_xy_unaligned_dirReg
    .private_segment_fixed_size: 0
    .sgpr_count:     40
    .sgpr_spill_count: 0
    .symbol:         fft_rtc_back_len256_factors_4_4_4_4_wgs_256_tpt_32_half_op_CI_CI_sbrc_erc_z_xy_unaligned_dirReg.kd
    .uniform_work_group_size: 1
    .uses_dynamic_stack: false
    .vgpr_count:     42
    .vgpr_spill_count: 0
    .wavefront_size: 32
    .workgroup_processor_mode: 1
amdhsa.target:   amdgcn-amd-amdhsa--gfx1030
amdhsa.version:
  - 1
  - 2
...

	.end_amdgpu_metadata
